;; amdgpu-corpus repo=ROCm/rocFFT kind=compiled arch=gfx1100 opt=O3
	.text
	.amdgcn_target "amdgcn-amd-amdhsa--gfx1100"
	.amdhsa_code_object_version 6
	.protected	fft_rtc_fwd_len1040_factors_13_16_5_wgs_208_tpt_208_halfLds_dp_ip_CI_unitstride_sbrr_C2R_dirReg ; -- Begin function fft_rtc_fwd_len1040_factors_13_16_5_wgs_208_tpt_208_halfLds_dp_ip_CI_unitstride_sbrr_C2R_dirReg
	.globl	fft_rtc_fwd_len1040_factors_13_16_5_wgs_208_tpt_208_halfLds_dp_ip_CI_unitstride_sbrr_C2R_dirReg
	.p2align	8
	.type	fft_rtc_fwd_len1040_factors_13_16_5_wgs_208_tpt_208_halfLds_dp_ip_CI_unitstride_sbrr_C2R_dirReg,@function
fft_rtc_fwd_len1040_factors_13_16_5_wgs_208_tpt_208_halfLds_dp_ip_CI_unitstride_sbrr_C2R_dirReg: ; @fft_rtc_fwd_len1040_factors_13_16_5_wgs_208_tpt_208_halfLds_dp_ip_CI_unitstride_sbrr_C2R_dirReg
; %bb.0:
	s_clause 0x2
	s_load_b128 s[4:7], s[0:1], 0x0
	s_load_b64 s[8:9], s[0:1], 0x50
	s_load_b64 s[10:11], s[0:1], 0x18
	v_mul_u32_u24_e32 v1, 0x13c, v0
	v_mov_b32_e32 v3, 0
	v_mov_b32_e32 v4, 0
	s_delay_alu instid0(VALU_DEP_3) | instskip(SKIP_1) | instid1(VALU_DEP_1)
	v_lshrrev_b32_e32 v2, 16, v1
	v_mov_b32_e32 v1, 0
	v_dual_mov_b32 v6, v1 :: v_dual_add_nc_u32 v5, s15, v2
	s_waitcnt lgkmcnt(0)
	v_cmp_lt_u64_e64 s2, s[6:7], 2
	s_delay_alu instid0(VALU_DEP_1)
	s_and_b32 vcc_lo, exec_lo, s2
	s_cbranch_vccnz .LBB0_8
; %bb.1:
	s_load_b64 s[2:3], s[0:1], 0x10
	v_mov_b32_e32 v3, 0
	s_add_u32 s12, s10, 8
	v_mov_b32_e32 v4, 0
	s_addc_u32 s13, s11, 0
	s_mov_b64 s[16:17], 1
	s_waitcnt lgkmcnt(0)
	s_add_u32 s14, s2, 8
	s_addc_u32 s15, s3, 0
.LBB0_2:                                ; =>This Inner Loop Header: Depth=1
	s_load_b64 s[18:19], s[14:15], 0x0
                                        ; implicit-def: $vgpr7_vgpr8
	s_mov_b32 s2, exec_lo
	s_waitcnt lgkmcnt(0)
	v_or_b32_e32 v2, s19, v6
	s_delay_alu instid0(VALU_DEP_1)
	v_cmpx_ne_u64_e32 0, v[1:2]
	s_xor_b32 s3, exec_lo, s2
	s_cbranch_execz .LBB0_4
; %bb.3:                                ;   in Loop: Header=BB0_2 Depth=1
	v_cvt_f32_u32_e32 v2, s18
	v_cvt_f32_u32_e32 v7, s19
	s_sub_u32 s2, 0, s18
	s_subb_u32 s20, 0, s19
	s_delay_alu instid0(VALU_DEP_1) | instskip(NEXT) | instid1(VALU_DEP_1)
	v_fmac_f32_e32 v2, 0x4f800000, v7
	v_rcp_f32_e32 v2, v2
	s_waitcnt_depctr 0xfff
	v_mul_f32_e32 v2, 0x5f7ffffc, v2
	s_delay_alu instid0(VALU_DEP_1) | instskip(NEXT) | instid1(VALU_DEP_1)
	v_mul_f32_e32 v7, 0x2f800000, v2
	v_trunc_f32_e32 v7, v7
	s_delay_alu instid0(VALU_DEP_1) | instskip(SKIP_1) | instid1(VALU_DEP_2)
	v_fmac_f32_e32 v2, 0xcf800000, v7
	v_cvt_u32_f32_e32 v7, v7
	v_cvt_u32_f32_e32 v2, v2
	s_delay_alu instid0(VALU_DEP_2) | instskip(NEXT) | instid1(VALU_DEP_2)
	v_mul_lo_u32 v8, s2, v7
	v_mul_hi_u32 v9, s2, v2
	v_mul_lo_u32 v10, s20, v2
	s_delay_alu instid0(VALU_DEP_2) | instskip(SKIP_1) | instid1(VALU_DEP_2)
	v_add_nc_u32_e32 v8, v9, v8
	v_mul_lo_u32 v9, s2, v2
	v_add_nc_u32_e32 v8, v8, v10
	s_delay_alu instid0(VALU_DEP_2) | instskip(NEXT) | instid1(VALU_DEP_2)
	v_mul_hi_u32 v10, v2, v9
	v_mul_lo_u32 v11, v2, v8
	v_mul_hi_u32 v12, v2, v8
	v_mul_hi_u32 v13, v7, v9
	v_mul_lo_u32 v9, v7, v9
	v_mul_hi_u32 v14, v7, v8
	v_mul_lo_u32 v8, v7, v8
	v_add_co_u32 v10, vcc_lo, v10, v11
	v_add_co_ci_u32_e32 v11, vcc_lo, 0, v12, vcc_lo
	s_delay_alu instid0(VALU_DEP_2) | instskip(NEXT) | instid1(VALU_DEP_2)
	v_add_co_u32 v9, vcc_lo, v10, v9
	v_add_co_ci_u32_e32 v9, vcc_lo, v11, v13, vcc_lo
	v_add_co_ci_u32_e32 v10, vcc_lo, 0, v14, vcc_lo
	s_delay_alu instid0(VALU_DEP_2) | instskip(NEXT) | instid1(VALU_DEP_2)
	v_add_co_u32 v8, vcc_lo, v9, v8
	v_add_co_ci_u32_e32 v9, vcc_lo, 0, v10, vcc_lo
	s_delay_alu instid0(VALU_DEP_2) | instskip(NEXT) | instid1(VALU_DEP_2)
	v_add_co_u32 v2, vcc_lo, v2, v8
	v_add_co_ci_u32_e32 v7, vcc_lo, v7, v9, vcc_lo
	s_delay_alu instid0(VALU_DEP_2) | instskip(SKIP_1) | instid1(VALU_DEP_3)
	v_mul_hi_u32 v8, s2, v2
	v_mul_lo_u32 v10, s20, v2
	v_mul_lo_u32 v9, s2, v7
	s_delay_alu instid0(VALU_DEP_1) | instskip(SKIP_1) | instid1(VALU_DEP_2)
	v_add_nc_u32_e32 v8, v8, v9
	v_mul_lo_u32 v9, s2, v2
	v_add_nc_u32_e32 v8, v8, v10
	s_delay_alu instid0(VALU_DEP_2) | instskip(NEXT) | instid1(VALU_DEP_2)
	v_mul_hi_u32 v10, v2, v9
	v_mul_lo_u32 v11, v2, v8
	v_mul_hi_u32 v12, v2, v8
	v_mul_hi_u32 v13, v7, v9
	v_mul_lo_u32 v9, v7, v9
	v_mul_hi_u32 v14, v7, v8
	v_mul_lo_u32 v8, v7, v8
	v_add_co_u32 v10, vcc_lo, v10, v11
	v_add_co_ci_u32_e32 v11, vcc_lo, 0, v12, vcc_lo
	s_delay_alu instid0(VALU_DEP_2) | instskip(NEXT) | instid1(VALU_DEP_2)
	v_add_co_u32 v9, vcc_lo, v10, v9
	v_add_co_ci_u32_e32 v9, vcc_lo, v11, v13, vcc_lo
	v_add_co_ci_u32_e32 v10, vcc_lo, 0, v14, vcc_lo
	s_delay_alu instid0(VALU_DEP_2) | instskip(NEXT) | instid1(VALU_DEP_2)
	v_add_co_u32 v8, vcc_lo, v9, v8
	v_add_co_ci_u32_e32 v9, vcc_lo, 0, v10, vcc_lo
	s_delay_alu instid0(VALU_DEP_2) | instskip(NEXT) | instid1(VALU_DEP_2)
	v_add_co_u32 v2, vcc_lo, v2, v8
	v_add_co_ci_u32_e32 v13, vcc_lo, v7, v9, vcc_lo
	s_delay_alu instid0(VALU_DEP_2) | instskip(SKIP_1) | instid1(VALU_DEP_3)
	v_mul_hi_u32 v14, v5, v2
	v_mad_u64_u32 v[9:10], null, v6, v2, 0
	v_mad_u64_u32 v[7:8], null, v5, v13, 0
	;; [unrolled: 1-line block ×3, first 2 shown]
	s_delay_alu instid0(VALU_DEP_2) | instskip(NEXT) | instid1(VALU_DEP_3)
	v_add_co_u32 v2, vcc_lo, v14, v7
	v_add_co_ci_u32_e32 v7, vcc_lo, 0, v8, vcc_lo
	s_delay_alu instid0(VALU_DEP_2) | instskip(NEXT) | instid1(VALU_DEP_2)
	v_add_co_u32 v2, vcc_lo, v2, v9
	v_add_co_ci_u32_e32 v2, vcc_lo, v7, v10, vcc_lo
	v_add_co_ci_u32_e32 v7, vcc_lo, 0, v12, vcc_lo
	s_delay_alu instid0(VALU_DEP_2) | instskip(NEXT) | instid1(VALU_DEP_2)
	v_add_co_u32 v2, vcc_lo, v2, v11
	v_add_co_ci_u32_e32 v9, vcc_lo, 0, v7, vcc_lo
	s_delay_alu instid0(VALU_DEP_2) | instskip(SKIP_1) | instid1(VALU_DEP_3)
	v_mul_lo_u32 v10, s19, v2
	v_mad_u64_u32 v[7:8], null, s18, v2, 0
	v_mul_lo_u32 v11, s18, v9
	s_delay_alu instid0(VALU_DEP_2) | instskip(NEXT) | instid1(VALU_DEP_2)
	v_sub_co_u32 v7, vcc_lo, v5, v7
	v_add3_u32 v8, v8, v11, v10
	s_delay_alu instid0(VALU_DEP_1) | instskip(NEXT) | instid1(VALU_DEP_1)
	v_sub_nc_u32_e32 v10, v6, v8
	v_subrev_co_ci_u32_e64 v10, s2, s19, v10, vcc_lo
	v_add_co_u32 v11, s2, v2, 2
	s_delay_alu instid0(VALU_DEP_1) | instskip(SKIP_3) | instid1(VALU_DEP_3)
	v_add_co_ci_u32_e64 v12, s2, 0, v9, s2
	v_sub_co_u32 v13, s2, v7, s18
	v_sub_co_ci_u32_e32 v8, vcc_lo, v6, v8, vcc_lo
	v_subrev_co_ci_u32_e64 v10, s2, 0, v10, s2
	v_cmp_le_u32_e32 vcc_lo, s18, v13
	s_delay_alu instid0(VALU_DEP_3) | instskip(SKIP_1) | instid1(VALU_DEP_4)
	v_cmp_eq_u32_e64 s2, s19, v8
	v_cndmask_b32_e64 v13, 0, -1, vcc_lo
	v_cmp_le_u32_e32 vcc_lo, s19, v10
	v_cndmask_b32_e64 v14, 0, -1, vcc_lo
	v_cmp_le_u32_e32 vcc_lo, s18, v7
	;; [unrolled: 2-line block ×3, first 2 shown]
	v_cndmask_b32_e64 v15, 0, -1, vcc_lo
	v_cmp_eq_u32_e32 vcc_lo, s19, v10
	s_delay_alu instid0(VALU_DEP_2) | instskip(SKIP_3) | instid1(VALU_DEP_3)
	v_cndmask_b32_e64 v7, v15, v7, s2
	v_cndmask_b32_e32 v10, v14, v13, vcc_lo
	v_add_co_u32 v13, vcc_lo, v2, 1
	v_add_co_ci_u32_e32 v14, vcc_lo, 0, v9, vcc_lo
	v_cmp_ne_u32_e32 vcc_lo, 0, v10
	s_delay_alu instid0(VALU_DEP_2) | instskip(NEXT) | instid1(VALU_DEP_4)
	v_cndmask_b32_e32 v8, v14, v12, vcc_lo
	v_cndmask_b32_e32 v10, v13, v11, vcc_lo
	v_cmp_ne_u32_e32 vcc_lo, 0, v7
	s_delay_alu instid0(VALU_DEP_2)
	v_dual_cndmask_b32 v7, v2, v10 :: v_dual_cndmask_b32 v8, v9, v8
.LBB0_4:                                ;   in Loop: Header=BB0_2 Depth=1
	s_and_not1_saveexec_b32 s2, s3
	s_cbranch_execz .LBB0_6
; %bb.5:                                ;   in Loop: Header=BB0_2 Depth=1
	v_cvt_f32_u32_e32 v2, s18
	s_sub_i32 s3, 0, s18
	s_delay_alu instid0(VALU_DEP_1) | instskip(SKIP_2) | instid1(VALU_DEP_1)
	v_rcp_iflag_f32_e32 v2, v2
	s_waitcnt_depctr 0xfff
	v_mul_f32_e32 v2, 0x4f7ffffe, v2
	v_cvt_u32_f32_e32 v2, v2
	s_delay_alu instid0(VALU_DEP_1) | instskip(NEXT) | instid1(VALU_DEP_1)
	v_mul_lo_u32 v7, s3, v2
	v_mul_hi_u32 v7, v2, v7
	s_delay_alu instid0(VALU_DEP_1) | instskip(NEXT) | instid1(VALU_DEP_1)
	v_add_nc_u32_e32 v2, v2, v7
	v_mul_hi_u32 v2, v5, v2
	s_delay_alu instid0(VALU_DEP_1) | instskip(SKIP_1) | instid1(VALU_DEP_2)
	v_mul_lo_u32 v7, v2, s18
	v_add_nc_u32_e32 v8, 1, v2
	v_sub_nc_u32_e32 v7, v5, v7
	s_delay_alu instid0(VALU_DEP_1) | instskip(SKIP_1) | instid1(VALU_DEP_2)
	v_subrev_nc_u32_e32 v9, s18, v7
	v_cmp_le_u32_e32 vcc_lo, s18, v7
	v_dual_cndmask_b32 v7, v7, v9 :: v_dual_cndmask_b32 v2, v2, v8
	s_delay_alu instid0(VALU_DEP_1) | instskip(NEXT) | instid1(VALU_DEP_2)
	v_cmp_le_u32_e32 vcc_lo, s18, v7
	v_add_nc_u32_e32 v8, 1, v2
	s_delay_alu instid0(VALU_DEP_1)
	v_dual_cndmask_b32 v7, v2, v8 :: v_dual_mov_b32 v8, v1
.LBB0_6:                                ;   in Loop: Header=BB0_2 Depth=1
	s_or_b32 exec_lo, exec_lo, s2
	s_load_b64 s[2:3], s[12:13], 0x0
	s_delay_alu instid0(VALU_DEP_1) | instskip(NEXT) | instid1(VALU_DEP_2)
	v_mul_lo_u32 v2, v8, s18
	v_mul_lo_u32 v11, v7, s19
	v_mad_u64_u32 v[9:10], null, v7, s18, 0
	s_add_u32 s16, s16, 1
	s_addc_u32 s17, s17, 0
	s_add_u32 s12, s12, 8
	s_addc_u32 s13, s13, 0
	;; [unrolled: 2-line block ×3, first 2 shown]
	s_delay_alu instid0(VALU_DEP_1) | instskip(SKIP_1) | instid1(VALU_DEP_2)
	v_add3_u32 v2, v10, v11, v2
	v_sub_co_u32 v9, vcc_lo, v5, v9
	v_sub_co_ci_u32_e32 v2, vcc_lo, v6, v2, vcc_lo
	s_waitcnt lgkmcnt(0)
	s_delay_alu instid0(VALU_DEP_2) | instskip(NEXT) | instid1(VALU_DEP_2)
	v_mul_lo_u32 v10, s3, v9
	v_mul_lo_u32 v2, s2, v2
	v_mad_u64_u32 v[5:6], null, s2, v9, v[3:4]
	v_cmp_ge_u64_e64 s2, s[16:17], s[6:7]
	s_delay_alu instid0(VALU_DEP_1) | instskip(NEXT) | instid1(VALU_DEP_2)
	s_and_b32 vcc_lo, exec_lo, s2
	v_add3_u32 v4, v10, v6, v2
	s_delay_alu instid0(VALU_DEP_3)
	v_mov_b32_e32 v3, v5
	s_cbranch_vccnz .LBB0_9
; %bb.7:                                ;   in Loop: Header=BB0_2 Depth=1
	v_dual_mov_b32 v5, v7 :: v_dual_mov_b32 v6, v8
	s_branch .LBB0_2
.LBB0_8:
	v_dual_mov_b32 v8, v6 :: v_dual_mov_b32 v7, v5
.LBB0_9:
	s_lshl_b64 s[2:3], s[6:7], 3
	s_delay_alu instid0(SALU_CYCLE_1)
	s_add_u32 s2, s10, s2
	s_addc_u32 s3, s11, s3
	s_load_b64 s[2:3], s[2:3], 0x0
	s_load_b64 s[0:1], s[0:1], 0x20
	s_waitcnt lgkmcnt(0)
	v_mul_lo_u32 v5, s2, v8
	v_mul_lo_u32 v6, s3, v7
	v_mad_u64_u32 v[1:2], null, s2, v7, v[3:4]
	v_mul_hi_u32 v3, 0x13b13b2, v0
	v_cmp_gt_u64_e32 vcc_lo, s[0:1], v[7:8]
	s_delay_alu instid0(VALU_DEP_3) | instskip(NEXT) | instid1(VALU_DEP_3)
	v_add3_u32 v2, v6, v2, v5
	v_mul_u32_u24_e32 v3, 0xd0, v3
	s_delay_alu instid0(VALU_DEP_2) | instskip(NEXT) | instid1(VALU_DEP_2)
	v_lshlrev_b64 v[66:67], 4, v[1:2]
	v_sub_nc_u32_e32 v64, v0, v3
	s_and_saveexec_b32 s1, vcc_lo
	s_cbranch_execz .LBB0_13
; %bb.10:
	v_mov_b32_e32 v65, 0
	s_delay_alu instid0(VALU_DEP_3) | instskip(NEXT) | instid1(VALU_DEP_1)
	v_add_co_u32 v0, s0, s8, v66
	v_add_co_ci_u32_e64 v1, s0, s9, v67, s0
	s_delay_alu instid0(VALU_DEP_3) | instskip(SKIP_2) | instid1(VALU_DEP_2)
	v_lshlrev_b64 v[2:3], 4, v[64:65]
	v_lshl_add_u32 v22, v64, 4, 0
	s_mov_b32 s2, exec_lo
	v_add_co_u32 v6, s0, v0, v2
	s_delay_alu instid0(VALU_DEP_1) | instskip(NEXT) | instid1(VALU_DEP_2)
	v_add_co_ci_u32_e64 v7, s0, v1, v3, s0
	v_add_co_u32 v10, s0, 0x1000, v6
	s_delay_alu instid0(VALU_DEP_1) | instskip(SKIP_1) | instid1(VALU_DEP_1)
	v_add_co_ci_u32_e64 v11, s0, 0, v7, s0
	v_add_co_u32 v14, s0, 0x2000, v6
	v_add_co_ci_u32_e64 v15, s0, 0, v7, s0
	v_add_co_u32 v18, s0, 0x3000, v6
	s_delay_alu instid0(VALU_DEP_1)
	v_add_co_ci_u32_e64 v19, s0, 0, v7, s0
	s_clause 0x4
	global_load_b128 v[2:5], v[6:7], off
	global_load_b128 v[6:9], v[6:7], off offset:3328
	global_load_b128 v[10:13], v[10:11], off offset:2560
	;; [unrolled: 1-line block ×4, first 2 shown]
	s_waitcnt vmcnt(4)
	ds_store_b128 v22, v[2:5]
	s_waitcnt vmcnt(3)
	ds_store_b128 v22, v[6:9] offset:3328
	s_waitcnt vmcnt(2)
	ds_store_b128 v22, v[10:13] offset:6656
	;; [unrolled: 2-line block ×4, first 2 shown]
	v_cmpx_eq_u32_e32 0xcf, v64
	s_cbranch_execz .LBB0_12
; %bb.11:
	v_add_co_u32 v0, s0, 0x4000, v0
	s_delay_alu instid0(VALU_DEP_1)
	v_add_co_ci_u32_e64 v1, s0, 0, v1, s0
	v_mov_b32_e32 v64, 0xcf
	global_load_b128 v[0:3], v[0:1], off offset:256
	s_waitcnt vmcnt(0)
	ds_store_b128 v65, v[0:3] offset:16640
.LBB0_12:
	s_or_b32 exec_lo, exec_lo, s2
.LBB0_13:
	s_delay_alu instid0(SALU_CYCLE_1) | instskip(NEXT) | instid1(VALU_DEP_1)
	s_or_b32 exec_lo, exec_lo, s1
	v_lshlrev_b32_e32 v0, 4, v64
	s_waitcnt lgkmcnt(0)
	s_barrier
	buffer_gl0_inv
	s_add_u32 s1, s4, 0x4030
	v_add_nc_u32_e32 v68, 0, v0
	v_sub_nc_u32_e32 v6, 0, v0
	s_addc_u32 s2, s5, 0
	s_mov_b32 s3, exec_lo
	ds_load_b64 v[2:3], v68
	ds_load_b64 v[4:5], v6 offset:16640
	s_waitcnt lgkmcnt(0)
	v_add_f64 v[0:1], v[2:3], v[4:5]
	v_add_f64 v[2:3], v[2:3], -v[4:5]
                                        ; implicit-def: $vgpr4_vgpr5
	v_cmpx_ne_u32_e32 0, v64
	s_xor_b32 s3, exec_lo, s3
	s_cbranch_execz .LBB0_15
; %bb.14:
	v_mov_b32_e32 v65, 0
	s_delay_alu instid0(VALU_DEP_1) | instskip(NEXT) | instid1(VALU_DEP_1)
	v_lshlrev_b64 v[4:5], 4, v[64:65]
	v_add_co_u32 v4, s0, s1, v4
	s_delay_alu instid0(VALU_DEP_1)
	v_add_co_ci_u32_e64 v5, s0, s2, v5, s0
	global_load_b128 v[7:10], v[4:5], off
	ds_load_b64 v[4:5], v6 offset:16648
	ds_load_b64 v[11:12], v68 offset:8
	s_waitcnt lgkmcnt(0)
	v_add_f64 v[13:14], v[4:5], v[11:12]
	v_add_f64 v[4:5], v[11:12], -v[4:5]
	s_waitcnt vmcnt(0)
	v_fma_f64 v[11:12], v[2:3], v[9:10], v[0:1]
	s_delay_alu instid0(VALU_DEP_2) | instskip(SKIP_2) | instid1(VALU_DEP_4)
	v_fma_f64 v[15:16], v[13:14], v[9:10], v[4:5]
	v_fma_f64 v[0:1], -v[2:3], v[9:10], v[0:1]
	v_fma_f64 v[4:5], v[13:14], v[9:10], -v[4:5]
	v_fma_f64 v[9:10], -v[13:14], v[7:8], v[11:12]
	s_delay_alu instid0(VALU_DEP_4) | instskip(NEXT) | instid1(VALU_DEP_4)
	v_fma_f64 v[11:12], v[2:3], v[7:8], v[15:16]
	v_fma_f64 v[0:1], v[13:14], v[7:8], v[0:1]
	s_delay_alu instid0(VALU_DEP_4)
	v_fma_f64 v[2:3], v[2:3], v[7:8], v[4:5]
	v_dual_mov_b32 v4, v64 :: v_dual_mov_b32 v5, v65
	ds_store_b128 v68, v[9:12]
	ds_store_b128 v6, v[0:3] offset:16640
                                        ; implicit-def: $vgpr0_vgpr1
.LBB0_15:
	s_and_not1_saveexec_b32 s0, s3
	s_cbranch_execz .LBB0_17
; %bb.16:
	v_dual_mov_b32 v7, 0 :: v_dual_mov_b32 v4, 0
	ds_store_b128 v68, v[0:3]
	v_mov_b32_e32 v5, 0
	ds_load_b128 v[0:3], v7 offset:8320
	s_waitcnt lgkmcnt(0)
	v_add_f64 v[0:1], v[0:1], v[0:1]
	v_mul_f64 v[2:3], v[2:3], -2.0
	ds_store_b128 v7, v[0:3] offset:8320
.LBB0_17:
	s_or_b32 exec_lo, exec_lo, s0
	v_lshlrev_b64 v[0:1], 4, v[4:5]
	s_delay_alu instid0(VALU_DEP_1) | instskip(NEXT) | instid1(VALU_DEP_1)
	v_add_co_u32 v0, s0, s1, v0
	v_add_co_ci_u32_e64 v1, s0, s2, v1, s0
	s_mov_b32 s1, exec_lo
	global_load_b128 v[2:5], v[0:1], off offset:3328
	ds_load_b128 v[7:10], v68 offset:3328
	ds_load_b128 v[11:14], v6 offset:13312
	s_waitcnt lgkmcnt(0)
	v_add_f64 v[15:16], v[7:8], v[11:12]
	v_add_f64 v[17:18], v[13:14], v[9:10]
	v_add_f64 v[19:20], v[7:8], -v[11:12]
	v_add_f64 v[7:8], v[9:10], -v[13:14]
	s_waitcnt vmcnt(0)
	s_delay_alu instid0(VALU_DEP_2) | instskip(NEXT) | instid1(VALU_DEP_2)
	v_fma_f64 v[9:10], v[19:20], v[4:5], v[15:16]
	v_fma_f64 v[11:12], v[17:18], v[4:5], v[7:8]
	v_fma_f64 v[13:14], -v[19:20], v[4:5], v[15:16]
	v_fma_f64 v[4:5], v[17:18], v[4:5], -v[7:8]
	s_delay_alu instid0(VALU_DEP_4) | instskip(NEXT) | instid1(VALU_DEP_4)
	v_fma_f64 v[7:8], -v[17:18], v[2:3], v[9:10]
	v_fma_f64 v[9:10], v[19:20], v[2:3], v[11:12]
	s_delay_alu instid0(VALU_DEP_4) | instskip(NEXT) | instid1(VALU_DEP_4)
	v_fma_f64 v[11:12], v[17:18], v[2:3], v[13:14]
	v_fma_f64 v[13:14], v[19:20], v[2:3], v[4:5]
	ds_store_b128 v68, v[7:10] offset:3328
	ds_store_b128 v6, v[11:14] offset:13312
	v_cmpx_gt_u32_e32 0x68, v64
	s_cbranch_execz .LBB0_19
; %bb.18:
	v_add_co_u32 v0, s0, 0x1000, v0
	s_delay_alu instid0(VALU_DEP_1)
	v_add_co_ci_u32_e64 v1, s0, 0, v1, s0
	global_load_b128 v[0:3], v[0:1], off offset:2560
	ds_load_b128 v[7:10], v68 offset:6656
	ds_load_b128 v[11:14], v6 offset:9984
	s_waitcnt lgkmcnt(0)
	v_add_f64 v[4:5], v[7:8], v[11:12]
	v_add_f64 v[15:16], v[13:14], v[9:10]
	v_add_f64 v[11:12], v[7:8], -v[11:12]
	v_add_f64 v[7:8], v[9:10], -v[13:14]
	s_waitcnt vmcnt(0)
	s_delay_alu instid0(VALU_DEP_2) | instskip(NEXT) | instid1(VALU_DEP_2)
	v_fma_f64 v[9:10], v[11:12], v[2:3], v[4:5]
	v_fma_f64 v[13:14], v[15:16], v[2:3], v[7:8]
	v_fma_f64 v[17:18], -v[11:12], v[2:3], v[4:5]
	v_fma_f64 v[19:20], v[15:16], v[2:3], -v[7:8]
	s_delay_alu instid0(VALU_DEP_4) | instskip(NEXT) | instid1(VALU_DEP_4)
	v_fma_f64 v[2:3], -v[15:16], v[0:1], v[9:10]
	v_fma_f64 v[4:5], v[11:12], v[0:1], v[13:14]
	s_delay_alu instid0(VALU_DEP_4) | instskip(NEXT) | instid1(VALU_DEP_4)
	v_fma_f64 v[7:8], v[15:16], v[0:1], v[17:18]
	v_fma_f64 v[9:10], v[11:12], v[0:1], v[19:20]
	ds_store_b128 v68, v[2:5] offset:6656
	ds_store_b128 v6, v[7:10] offset:9984
.LBB0_19:
	s_or_b32 exec_lo, exec_lo, s1
	s_waitcnt lgkmcnt(0)
	s_barrier
	buffer_gl0_inv
	s_barrier
	buffer_gl0_inv
	ds_load_b128 v[12:15], v68
	ds_load_b128 v[24:27], v68 offset:1280
	ds_load_b128 v[36:39], v68 offset:2560
	;; [unrolled: 1-line block ×3, first 2 shown]
	s_mov_b32 s20, 0x42a4c3d2
	s_mov_b32 s24, 0x66966769
	;; [unrolled: 1-line block ×18, first 2 shown]
	s_waitcnt lgkmcnt(2)
	v_add_f64 v[0:1], v[12:13], v[24:25]
	v_add_f64 v[2:3], v[14:15], v[26:27]
	s_mov_b32 s1, 0x3fec55a7
	s_mov_b32 s3, 0x3fe22d96
	;; [unrolled: 1-line block ×16, first 2 shown]
	s_waitcnt lgkmcnt(1)
	s_delay_alu instid0(VALU_DEP_2) | instskip(NEXT) | instid1(VALU_DEP_2)
	v_add_f64 v[0:1], v[0:1], v[36:37]
	v_add_f64 v[2:3], v[2:3], v[38:39]
	s_waitcnt lgkmcnt(0)
	s_delay_alu instid0(VALU_DEP_2) | instskip(NEXT) | instid1(VALU_DEP_2)
	v_add_f64 v[52:53], v[0:1], v[44:45]
	v_add_f64 v[54:55], v[2:3], v[46:47]
	ds_load_b128 v[48:51], v68 offset:5120
	ds_load_b128 v[40:43], v68 offset:6400
	;; [unrolled: 1-line block ×9, first 2 shown]
	s_waitcnt lgkmcnt(0)
	s_barrier
	buffer_gl0_inv
	v_add_f64 v[56:57], v[26:27], -v[2:3]
	v_add_f64 v[58:59], v[24:25], -v[0:1]
	v_add_f64 v[71:72], v[24:25], v[0:1]
	v_add_f64 v[81:82], v[40:41], v[20:21]
	;; [unrolled: 1-line block ×3, first 2 shown]
	v_add_f64 v[85:86], v[40:41], -v[20:21]
	v_add_f64 v[87:88], v[42:43], -v[22:23]
	v_add_f64 v[73:74], v[26:27], v[2:3]
	v_add_f64 v[26:27], v[32:33], v[28:29]
	;; [unrolled: 1-line block ×3, first 2 shown]
	v_add_f64 v[60:61], v[38:39], -v[6:7]
	v_add_f64 v[62:63], v[36:37], -v[4:5]
	;; [unrolled: 1-line block ×3, first 2 shown]
	v_add_f64 v[75:76], v[44:45], v[8:9]
	v_add_f64 v[44:45], v[44:45], -v[8:9]
	v_add_f64 v[79:80], v[50:51], v[18:19]
	v_add_f64 v[36:37], v[36:37], v[4:5]
	;; [unrolled: 1-line block ×7, first 2 shown]
	v_add_f64 v[50:51], v[50:51], -v[18:19]
	v_add_f64 v[48:49], v[48:49], -v[16:17]
	v_mul_f64 v[89:90], v[56:57], s[14:15]
	v_mul_f64 v[91:92], v[56:57], s[20:21]
	;; [unrolled: 1-line block ×12, first 2 shown]
	s_mov_b32 s15, 0x3fddbe06
	v_mul_f64 v[109:110], v[60:61], s[20:21]
	v_mul_f64 v[111:112], v[62:63], s[20:21]
	;; [unrolled: 1-line block ×9, first 2 shown]
	v_add_f64 v[40:41], v[52:53], v[40:41]
	v_add_f64 v[42:43], v[54:55], v[42:43]
	v_add_f64 v[52:53], v[32:33], -v[28:29]
	v_add_f64 v[54:55], v[34:35], -v[30:31]
	v_mul_f64 v[127:128], v[62:63], s[26:27]
	v_mul_f64 v[129:130], v[62:63], s[30:31]
	;; [unrolled: 1-line block ×17, first 2 shown]
	v_fma_f64 v[157:158], v[71:72], s[0:1], -v[89:90]
	v_fma_f64 v[89:90], v[71:72], s[0:1], v[89:90]
	v_fma_f64 v[159:160], v[71:72], s[2:3], -v[91:92]
	v_fma_f64 v[91:92], v[71:72], s[2:3], v[91:92]
	v_fma_f64 v[161:162], v[71:72], s[6:7], -v[93:94]
	v_fma_f64 v[163:164], v[73:74], s[0:1], v[95:96]
	v_fma_f64 v[93:94], v[71:72], s[6:7], v[93:94]
	v_fma_f64 v[95:96], v[73:74], s[0:1], -v[95:96]
	v_fma_f64 v[165:166], v[71:72], s[10:11], -v[97:98]
	v_fma_f64 v[167:168], v[73:74], s[2:3], v[99:100]
	v_fma_f64 v[97:98], v[71:72], s[10:11], v[97:98]
	v_fma_f64 v[99:100], v[73:74], s[2:3], -v[99:100]
	v_fma_f64 v[169:170], v[71:72], s[12:13], -v[101:102]
	v_fma_f64 v[171:172], v[73:74], s[6:7], v[103:104]
	v_fma_f64 v[101:102], v[71:72], s[12:13], v[101:102]
	v_fma_f64 v[103:104], v[73:74], s[6:7], -v[103:104]
	v_fma_f64 v[173:174], v[71:72], s[16:17], -v[56:57]
	v_add_f64 v[32:33], v[40:41], v[32:33]
	v_add_f64 v[34:35], v[42:43], v[34:35]
	v_mul_f64 v[40:41], v[44:45], s[22:23]
	v_mul_f64 v[42:43], v[50:51], s[18:19]
	;; [unrolled: 1-line block ×4, first 2 shown]
	v_fma_f64 v[175:176], v[73:74], s[10:11], v[105:106]
	v_fma_f64 v[56:57], v[71:72], s[16:17], v[56:57]
	v_fma_f64 v[71:72], v[73:74], s[10:11], -v[105:106]
	v_fma_f64 v[105:106], v[73:74], s[12:13], v[107:108]
	v_fma_f64 v[107:108], v[73:74], s[12:13], -v[107:108]
	;; [unrolled: 2-line block ×3, first 2 shown]
	v_mul_f64 v[155:156], v[48:49], s[18:19]
	v_fma_f64 v[73:74], v[75:76], s[6:7], -v[113:114]
	v_fma_f64 v[113:114], v[75:76], s[6:7], v[113:114]
	v_fma_f64 v[179:180], v[36:37], s[10:11], -v[115:116]
	v_fma_f64 v[181:182], v[38:39], s[10:11], v[117:118]
	v_fma_f64 v[115:116], v[36:37], s[10:11], v[115:116]
	v_fma_f64 v[183:184], v[36:37], s[16:17], -v[121:122]
	v_fma_f64 v[121:122], v[36:37], s[16:17], v[121:122]
	v_fma_f64 v[185:186], v[36:37], s[12:13], -v[123:124]
	;; [unrolled: 2-line block ×7, first 2 shown]
	v_fma_f64 v[195:196], v[75:76], s[16:17], -v[119:120]
	v_fma_f64 v[119:120], v[75:76], s[16:17], v[119:120]
	v_fma_f64 v[197:198], v[75:76], s[10:11], -v[133:134]
	v_fma_f64 v[133:134], v[75:76], s[10:11], v[133:134]
	;; [unrolled: 2-line block ×3, first 2 shown]
	v_add_f64 v[28:29], v[32:33], v[28:29]
	v_add_f64 v[30:31], v[34:35], v[30:31]
	v_fma_f64 v[32:33], v[36:37], s[2:3], -v[109:110]
	v_fma_f64 v[34:35], v[38:39], s[2:3], v[111:112]
	v_fma_f64 v[109:110], v[36:37], s[2:3], v[109:110]
	v_fma_f64 v[111:112], v[38:39], s[2:3], -v[111:112]
	v_fma_f64 v[201:202], v[75:76], s[12:13], -v[137:138]
	v_fma_f64 v[137:138], v[75:76], s[12:13], v[137:138]
	v_fma_f64 v[203:204], v[46:47], s[6:7], v[139:140]
	v_fma_f64 v[139:140], v[46:47], s[6:7], -v[139:140]
	v_fma_f64 v[205:206], v[46:47], s[16:17], v[141:142]
	v_fma_f64 v[141:142], v[46:47], s[16:17], -v[141:142]
	;; [unrolled: 2-line block ×3, first 2 shown]
	v_fma_f64 v[209:210], v[77:78], s[10:11], -v[42:43]
	v_fma_f64 v[42:43], v[77:78], s[10:11], v[42:43]
	v_fma_f64 v[211:212], v[77:78], s[12:13], -v[147:148]
	v_fma_f64 v[147:148], v[77:78], s[12:13], v[147:148]
	v_add_f64 v[157:158], v[12:13], v[157:158]
	v_add_f64 v[163:164], v[14:15], v[163:164]
	;; [unrolled: 1-line block ×22, first 2 shown]
	v_fma_f64 v[28:29], v[46:47], s[2:3], v[145:146]
	v_fma_f64 v[30:31], v[46:47], s[2:3], -v[145:146]
	v_fma_f64 v[145:146], v[46:47], s[12:13], v[40:41]
	v_fma_f64 v[40:41], v[46:47], s[12:13], -v[40:41]
	v_add_f64 v[173:174], v[12:13], v[173:174]
	v_add_f64 v[177:178], v[14:15], v[177:178]
	;; [unrolled: 1-line block ×4, first 2 shown]
	v_fma_f64 v[56:57], v[77:78], s[6:7], -v[149:150]
	v_fma_f64 v[58:59], v[77:78], s[6:7], v[149:150]
	v_fma_f64 v[149:150], v[77:78], s[16:17], -v[151:152]
	v_fma_f64 v[151:152], v[77:78], s[16:17], v[151:152]
	v_mul_f64 v[213:214], v[48:49], s[24:25]
	v_mul_f64 v[215:216], v[48:49], s[36:37]
	;; [unrolled: 1-line block ×3, first 2 shown]
	v_fma_f64 v[219:220], v[79:80], s[10:11], v[155:156]
	v_fma_f64 v[155:156], v[79:80], s[10:11], -v[155:156]
	v_add_f64 v[32:33], v[32:33], v[157:158]
	v_add_f64 v[34:35], v[34:35], v[163:164]
	v_mul_f64 v[157:158], v[85:86], s[22:23]
	v_add_f64 v[91:92], v[115:116], v[91:92]
	v_add_f64 v[99:100], v[117:118], v[99:100]
	v_mul_f64 v[115:116], v[87:88], s[22:23]
	v_add_f64 v[117:118], v[189:190], v[171:172]
	v_add_f64 v[93:94], v[121:122], v[93:94]
	v_add_f64 v[103:104], v[127:128], v[103:104]
	v_mul_f64 v[171:172], v[85:86], s[20:21]
	v_add_f64 v[163:164], v[191:192], v[175:176]
	;; [unrolled: 4-line block ×3, first 2 shown]
	v_add_f64 v[101:102], v[125:126], v[101:102]
	v_add_f64 v[107:108], v[131:132], v[107:108]
	;; [unrolled: 1-line block ×4, first 2 shown]
	v_fma_f64 v[20:21], v[77:78], s[2:3], -v[153:154]
	v_fma_f64 v[22:23], v[77:78], s[2:3], v[153:154]
	v_fma_f64 v[153:154], v[36:37], s[0:1], -v[60:61]
	v_fma_f64 v[36:37], v[36:37], s[0:1], v[60:61]
	v_fma_f64 v[60:61], v[38:39], s[0:1], v[62:63]
	v_fma_f64 v[38:39], v[38:39], s[0:1], -v[62:63]
	v_fma_f64 v[62:63], v[75:76], s[0:1], -v[69:70]
	v_fma_f64 v[69:70], v[75:76], s[0:1], v[69:70]
	v_fma_f64 v[75:76], v[46:47], s[0:1], v[44:45]
	v_fma_f64 v[44:45], v[46:47], s[0:1], -v[44:45]
	v_fma_f64 v[46:47], v[77:78], s[0:1], -v[50:51]
	v_fma_f64 v[50:51], v[77:78], s[0:1], v[50:51]
	v_mul_f64 v[77:78], v[48:49], s[30:31]
	v_mul_f64 v[48:49], v[48:49], s[14:15]
	v_fma_f64 v[223:224], v[79:80], s[6:7], v[213:214]
	v_fma_f64 v[213:214], v[79:80], s[6:7], -v[213:214]
	v_fma_f64 v[225:226], v[79:80], s[16:17], v[215:216]
	v_fma_f64 v[215:216], v[79:80], s[16:17], -v[215:216]
	;; [unrolled: 2-line block ×3, first 2 shown]
	v_mul_f64 v[129:130], v[87:88], s[36:37]
	v_mul_f64 v[125:126], v[85:86], s[36:37]
	;; [unrolled: 1-line block ×3, first 2 shown]
	v_add_f64 v[32:33], v[73:74], v[32:33]
	v_add_f64 v[34:35], v[203:204], v[34:35]
	;; [unrolled: 1-line block ×7, first 2 shown]
	v_mul_f64 v[121:122], v[54:55], s[26:27]
	v_mul_f64 v[127:128], v[52:53], s[26:27]
	;; [unrolled: 1-line block ×3, first 2 shown]
	v_add_f64 v[28:29], v[28:29], v[105:106]
	v_mul_f64 v[73:74], v[54:55], s[18:19]
	v_add_f64 v[30:31], v[30:31], v[107:108]
	v_fma_f64 v[105:106], v[81:82], s[2:3], v[123:124]
	v_fma_f64 v[133:134], v[83:84], s[2:3], v[171:172]
	v_fma_f64 v[143:144], v[83:84], s[2:3], -v[171:172]
	v_add_f64 v[8:9], v[16:17], v[8:9]
	v_add_f64 v[153:154], v[153:154], v[173:174]
	;; [unrolled: 1-line block ×5, first 2 shown]
	v_mul_f64 v[173:174], v[54:55], s[22:23]
	v_add_f64 v[69:70], v[69:70], v[97:98]
	v_add_f64 v[75:76], v[75:76], v[163:164]
	v_add_f64 v[44:45], v[44:45], v[71:72]
	v_add_f64 v[97:98], v[135:136], v[101:102]
	v_mul_f64 v[36:37], v[54:55], s[34:35]
	v_fma_f64 v[221:222], v[79:80], s[12:13], v[77:78]
	v_fma_f64 v[77:78], v[79:80], s[12:13], -v[77:78]
	v_fma_f64 v[229:230], v[79:80], s[0:1], v[48:49]
	v_fma_f64 v[48:49], v[79:80], s[0:1], -v[48:49]
	v_add_f64 v[79:80], v[109:110], v[89:90]
	v_add_f64 v[89:90], v[111:112], v[95:96]
	;; [unrolled: 1-line block ×7, first 2 shown]
	v_mul_f64 v[161:162], v[87:88], s[28:29]
	v_mul_f64 v[165:166], v[85:86], s[28:29]
	;; [unrolled: 1-line block ×8, first 2 shown]
	v_fma_f64 v[179:180], v[81:82], s[12:13], -v[115:116]
	v_fma_f64 v[181:182], v[83:84], s[12:13], v[157:158]
	v_fma_f64 v[115:116], v[81:82], s[12:13], v[115:116]
	v_fma_f64 v[157:158], v[83:84], s[12:13], -v[157:158]
	v_fma_f64 v[101:102], v[81:82], s[2:3], -v[123:124]
	;; [unrolled: 1-line block ×3, first 2 shown]
	v_fma_f64 v[123:124], v[81:82], s[16:17], v[129:130]
	v_add_f64 v[32:33], v[209:210], v[32:33]
	v_add_f64 v[34:35], v[219:220], v[34:35]
	;; [unrolled: 1-line block ×6, first 2 shown]
	v_fma_f64 v[145:146], v[83:84], s[16:17], v[125:126]
	v_fma_f64 v[125:126], v[83:84], s[16:17], -v[125:126]
	v_add_f64 v[91:92], v[147:148], v[91:92]
	v_add_f64 v[10:11], v[18:19], v[10:11]
	;; [unrolled: 1-line block ×15, first 2 shown]
	v_mul_f64 v[113:114], v[52:53], s[18:19]
	v_mul_f64 v[139:140], v[52:53], s[14:15]
	v_fma_f64 v[119:120], v[81:82], s[6:7], -v[161:162]
	v_fma_f64 v[141:142], v[83:84], s[6:7], v[165:166]
	v_fma_f64 v[161:162], v[81:82], s[6:7], v[161:162]
	v_fma_f64 v[129:130], v[83:84], s[6:7], -v[165:166]
	v_fma_f64 v[153:154], v[81:82], s[0:1], -v[87:88]
	v_fma_f64 v[87:88], v[81:82], s[0:1], v[87:88]
	v_fma_f64 v[137:138], v[83:84], s[0:1], v[85:86]
	v_add_f64 v[30:31], v[215:216], v[30:31]
	v_mul_f64 v[52:53], v[52:53], s[28:29]
	v_fma_f64 v[77:78], v[26:27], s[16:17], -v[121:122]
	v_fma_f64 v[93:94], v[26:27], s[16:17], v[121:122]
	v_fma_f64 v[99:100], v[24:25], s[16:17], -v[127:128]
	v_add_f64 v[8:9], v[8:9], v[4:5]
	v_add_f64 v[32:33], v[179:180], v[32:33]
	;; [unrolled: 1-line block ×7, first 2 shown]
	v_fma_f64 v[22:23], v[26:27], s[0:1], -v[54:55]
	v_add_f64 v[6:7], v[10:11], v[6:7]
	v_add_f64 v[50:51], v[105:106], v[50:51]
	;; [unrolled: 1-line block ×4, first 2 shown]
	v_fma_f64 v[44:45], v[26:27], s[0:1], v[54:55]
	v_add_f64 v[40:41], v[42:43], v[79:80]
	v_add_f64 v[42:43], v[155:156], v[89:90]
	;; [unrolled: 1-line block ×10, first 2 shown]
	v_fma_f64 v[75:76], v[83:84], s[0:1], -v[85:86]
	v_fma_f64 v[95:96], v[81:82], s[10:11], -v[169:170]
	v_fma_f64 v[97:98], v[83:84], s[10:11], v[131:132]
	v_fma_f64 v[81:82], v[81:82], s[10:11], v[169:170]
	v_fma_f64 v[83:84], v[83:84], s[10:11], -v[131:132]
	v_fma_f64 v[85:86], v[24:25], s[16:17], v[127:128]
	v_fma_f64 v[103:104], v[24:25], s[0:1], v[139:140]
	v_add_f64 v[91:92], v[161:162], v[91:92]
	v_add_f64 v[10:11], v[129:130], v[16:17]
	;; [unrolled: 1-line block ×3, first 2 shown]
	v_fma_f64 v[109:110], v[24:25], s[10:11], v[113:114]
	v_fma_f64 v[111:112], v[26:27], s[6:7], -v[177:178]
	v_fma_f64 v[113:114], v[24:25], s[10:11], -v[113:114]
	v_add_f64 v[4:5], v[77:78], v[32:33]
	v_add_f64 v[0:1], v[8:9], v[0:1]
	;; [unrolled: 1-line block ×14, first 2 shown]
	v_fma_f64 v[48:49], v[26:27], s[12:13], -v[173:174]
	v_add_f64 v[30:31], v[75:76], v[30:31]
	v_fma_f64 v[75:76], v[24:25], s[12:13], v[175:176]
	v_fma_f64 v[87:88], v[26:27], s[12:13], v[173:174]
	v_fma_f64 v[107:108], v[24:25], s[12:13], -v[175:176]
	v_fma_f64 v[46:47], v[24:25], s[0:1], -v[139:140]
	v_add_f64 v[54:55], v[95:96], v[20:21]
	v_fma_f64 v[20:21], v[26:27], s[2:3], -v[36:37]
	v_add_f64 v[60:61], v[97:98], v[60:61]
	v_fma_f64 v[95:96], v[24:25], s[2:3], v[38:39]
	v_fma_f64 v[36:37], v[26:27], s[2:3], v[36:37]
	v_fma_f64 v[38:39], v[24:25], s[2:3], -v[38:39]
	v_add_f64 v[81:82], v[81:82], v[12:13]
	v_fma_f64 v[97:98], v[26:27], s[10:11], -v[73:74]
	v_fma_f64 v[73:74], v[26:27], s[10:11], v[73:74]
	v_fma_f64 v[26:27], v[26:27], s[6:7], v[177:178]
	;; [unrolled: 1-line block ×3, first 2 shown]
	v_fma_f64 v[52:53], v[24:25], s[6:7], -v[52:53]
	v_add_f64 v[83:84], v[83:84], v[14:15]
	v_add_f64 v[6:7], v[85:86], v[34:35]
	;; [unrolled: 1-line block ×3, first 2 shown]
	s_mov_b32 s1, exec_lo
	v_add_f64 v[40:41], v[93:94], v[40:41]
	v_add_f64 v[42:43], v[99:100], v[42:43]
	;; [unrolled: 1-line block ×21, first 2 shown]
	v_cmpx_gt_u32_e32 0x50, v64
	s_cbranch_execz .LBB0_21
; %bb.20:
	v_mad_u32_u24 v52, 0xc0, v64, v68
	ds_store_b128 v52, v[0:3]
	ds_store_b128 v52, v[4:7] offset:16
	ds_store_b128 v52, v[12:15] offset:32
	;; [unrolled: 1-line block ×12, first 2 shown]
.LBB0_21:
	s_or_b32 exec_lo, exec_lo, s1
	v_cmp_gt_u32_e64 s0, 0x41, v64
	s_waitcnt lgkmcnt(0)
	s_barrier
	buffer_gl0_inv
                                        ; implicit-def: $vgpr54_vgpr55
                                        ; implicit-def: $vgpr62_vgpr63
                                        ; implicit-def: $vgpr58_vgpr59
	s_and_saveexec_b32 s1, s0
	s_cbranch_execz .LBB0_23
; %bb.22:
	ds_load_b128 v[0:3], v68
	ds_load_b128 v[4:7], v68 offset:1040
	ds_load_b128 v[12:15], v68 offset:2080
	;; [unrolled: 1-line block ×15, first 2 shown]
.LBB0_23:
	s_or_b32 exec_lo, exec_lo, s1
	s_waitcnt lgkmcnt(0)
	s_barrier
	buffer_gl0_inv
	s_and_saveexec_b32 s6, s0
	s_cbranch_execz .LBB0_25
; %bb.24:
	v_and_b32_e32 v65, 0xff, v64
	s_mov_b32 s0, 0x667f3bcd
	s_mov_b32 s1, 0x3fe6a09e
	;; [unrolled: 1-line block ×4, first 2 shown]
	v_mul_lo_u16 v65, 0x4f, v65
	s_mov_b32 s10, 0xcf328d46
	s_mov_b32 s11, 0x3fed906b
	;; [unrolled: 1-line block ×4, first 2 shown]
	v_lshrrev_b16 v65, 10, v65
	s_mov_b32 s15, 0xbfd87de2
	s_mov_b32 s14, s12
	s_mov_b32 s17, 0xbfed906b
	s_mov_b32 s16, s10
	v_mul_lo_u16 v69, v65, 13
	v_and_b32_e32 v65, 0xffff, v65
	s_delay_alu instid0(VALU_DEP_2) | instskip(NEXT) | instid1(VALU_DEP_2)
	v_sub_nc_u16 v69, v64, v69
	v_mul_u32_u24_e32 v65, 0xd0, v65
	s_delay_alu instid0(VALU_DEP_2) | instskip(NEXT) | instid1(VALU_DEP_1)
	v_and_b32_e32 v69, 0xff, v69
	v_mul_u32_u24_e32 v70, 15, v69
	s_delay_alu instid0(VALU_DEP_3) | instskip(NEXT) | instid1(VALU_DEP_2)
	v_or_b32_e32 v65, v65, v69
	v_lshlrev_b32_e32 v126, 4, v70
	s_delay_alu instid0(VALU_DEP_2)
	v_lshl_add_u32 v65, v65, 4, 0
	s_clause 0xe
	global_load_b128 v[70:73], v126, s[4:5] offset:16
	global_load_b128 v[74:77], v126, s[4:5] offset:144
	;; [unrolled: 1-line block ×7, first 2 shown]
	global_load_b128 v[98:101], v126, s[4:5]
	global_load_b128 v[102:105], v126, s[4:5] offset:128
	global_load_b128 v[106:109], v126, s[4:5] offset:64
	;; [unrolled: 1-line block ×7, first 2 shown]
	s_waitcnt vmcnt(14)
	v_mul_f64 v[130:131], v[14:15], v[72:73]
	s_waitcnt vmcnt(13)
	v_mul_f64 v[132:133], v[50:51], v[76:77]
	;; [unrolled: 2-line block ×4, first 2 shown]
	v_mul_f64 v[72:73], v[12:13], v[72:73]
	v_mul_f64 v[76:77], v[48:49], v[76:77]
	;; [unrolled: 1-line block ×4, first 2 shown]
	s_waitcnt vmcnt(10)
	v_mul_f64 v[138:139], v[18:19], v[88:89]
	s_waitcnt vmcnt(9)
	v_mul_f64 v[140:141], v[42:43], v[92:93]
	;; [unrolled: 2-line block ×11, first 2 shown]
	v_mul_f64 v[116:117], v[8:9], v[116:117]
	v_mul_f64 v[120:121], v[44:45], v[120:121]
	;; [unrolled: 1-line block ×11, first 2 shown]
	v_fma_f64 v[12:13], v[12:13], v[70:71], -v[130:131]
	v_fma_f64 v[48:49], v[48:49], v[74:75], -v[132:133]
	v_fma_f64 v[34:35], v[34:35], v[78:79], v[134:135]
	v_fma_f64 v[62:63], v[62:63], v[82:83], v[136:137]
	;; [unrolled: 1-line block ×4, first 2 shown]
	v_fma_f64 v[32:33], v[32:33], v[78:79], -v[80:81]
	v_fma_f64 v[60:61], v[60:61], v[82:83], -v[84:85]
	;; [unrolled: 1-line block ×4, first 2 shown]
	v_fma_f64 v[30:31], v[30:31], v[94:95], v[142:143]
	v_fma_f64 v[4:5], v[4:5], v[98:99], -v[144:145]
	v_fma_f64 v[36:37], v[36:37], v[102:103], -v[146:147]
	v_fma_f64 v[22:23], v[22:23], v[106:107], v[148:149]
	v_fma_f64 v[54:55], v[54:55], v[110:111], v[150:151]
	v_fma_f64 v[8:9], v[8:9], v[114:115], -v[152:153]
	v_fma_f64 v[44:45], v[44:45], v[118:119], -v[154:155]
	v_fma_f64 v[26:27], v[26:27], v[122:123], v[156:157]
	v_fma_f64 v[58:59], v[58:59], v[126:127], v[158:159]
	;; [unrolled: 1-line block ×4, first 2 shown]
	v_fma_f64 v[24:25], v[24:25], v[122:123], -v[124:125]
	v_fma_f64 v[56:57], v[56:57], v[126:127], -v[128:129]
	v_fma_f64 v[6:7], v[6:7], v[98:99], v[100:101]
	v_fma_f64 v[38:39], v[38:39], v[102:103], v[104:105]
	v_fma_f64 v[20:21], v[20:21], v[106:107], -v[108:109]
	v_fma_f64 v[52:53], v[52:53], v[110:111], -v[112:113]
	;; [unrolled: 1-line block ×3, first 2 shown]
	v_fma_f64 v[18:19], v[18:19], v[86:87], v[88:89]
	v_fma_f64 v[42:43], v[42:43], v[90:91], v[92:93]
	v_add_f64 v[48:49], v[12:13], -v[48:49]
	v_add_f64 v[62:63], v[34:35], -v[62:63]
	;; [unrolled: 1-line block ×16, first 2 shown]
	v_fma_f64 v[12:13], v[12:13], 2.0, -v[48:49]
	v_add_f64 v[70:71], v[48:49], -v[62:63]
	v_fma_f64 v[34:35], v[34:35], 2.0, -v[62:63]
	v_fma_f64 v[14:15], v[14:15], 2.0, -v[50:51]
	v_add_f64 v[74:75], v[50:51], v[60:61]
	v_fma_f64 v[32:33], v[32:33], 2.0, -v[60:61]
	v_fma_f64 v[16:17], v[16:17], 2.0, -v[40:41]
	v_add_f64 v[72:73], v[30:31], v[40:41]
	v_fma_f64 v[2:3], v[2:3], 2.0, -v[30:31]
	v_fma_f64 v[4:5], v[4:5], 2.0, -v[36:37]
	v_add_f64 v[76:77], v[36:37], -v[54:55]
	v_fma_f64 v[22:23], v[22:23], 2.0, -v[54:55]
	v_fma_f64 v[8:9], v[8:9], 2.0, -v[44:45]
	v_add_f64 v[78:79], v[44:45], -v[58:59]
	v_fma_f64 v[26:27], v[26:27], 2.0, -v[58:59]
	v_fma_f64 v[10:11], v[10:11], 2.0, -v[46:47]
	v_add_f64 v[80:81], v[46:47], v[56:57]
	v_fma_f64 v[24:25], v[24:25], 2.0, -v[56:57]
	v_fma_f64 v[6:7], v[6:7], 2.0, -v[38:39]
	v_add_f64 v[82:83], v[38:39], v[52:53]
	v_fma_f64 v[20:21], v[20:21], 2.0, -v[52:53]
	v_fma_f64 v[0:1], v[0:1], 2.0, -v[28:29]
	v_add_f64 v[84:85], v[28:29], -v[42:43]
	v_fma_f64 v[18:19], v[18:19], 2.0, -v[42:43]
	v_fma_f64 v[40:41], v[48:49], 2.0, -v[70:71]
	v_add_f64 v[34:35], v[14:15], -v[34:35]
	v_fma_f64 v[42:43], v[50:51], 2.0, -v[74:75]
	v_add_f64 v[32:33], v[12:13], -v[32:33]
	v_fma_f64 v[30:31], v[30:31], 2.0, -v[72:73]
	v_fma_f64 v[48:49], v[74:75], s[0:1], v[72:73]
	v_fma_f64 v[36:37], v[36:37], 2.0, -v[76:77]
	v_fma_f64 v[44:45], v[44:45], 2.0, -v[78:79]
	v_fma_f64 v[50:51], v[78:79], s[0:1], v[76:77]
	v_add_f64 v[26:27], v[10:11], -v[26:27]
	v_fma_f64 v[46:47], v[46:47], 2.0, -v[80:81]
	v_add_f64 v[24:25], v[8:9], -v[24:25]
	v_add_f64 v[22:23], v[6:7], -v[22:23]
	v_fma_f64 v[38:39], v[38:39], 2.0, -v[82:83]
	v_add_f64 v[20:21], v[4:5], -v[20:21]
	v_fma_f64 v[52:53], v[80:81], s[0:1], v[82:83]
	v_fma_f64 v[28:29], v[28:29], 2.0, -v[84:85]
	v_add_f64 v[18:19], v[2:3], -v[18:19]
	v_fma_f64 v[54:55], v[70:71], s[0:1], v[84:85]
	v_add_f64 v[16:17], v[0:1], -v[16:17]
	v_fma_f64 v[14:15], v[14:15], 2.0, -v[34:35]
	v_fma_f64 v[12:13], v[12:13], 2.0, -v[32:33]
	v_fma_f64 v[56:57], v[42:43], s[2:3], v[30:31]
	v_fma_f64 v[48:49], v[70:71], s[0:1], v[48:49]
	;; [unrolled: 1-line block ×4, first 2 shown]
	v_fma_f64 v[10:11], v[10:11], 2.0, -v[26:27]
	v_fma_f64 v[8:9], v[8:9], 2.0, -v[24:25]
	v_add_f64 v[24:25], v[22:23], v[24:25]
	v_fma_f64 v[6:7], v[6:7], 2.0, -v[22:23]
	v_fma_f64 v[60:61], v[46:47], s[2:3], v[38:39]
	v_fma_f64 v[4:5], v[4:5], 2.0, -v[20:21]
	v_fma_f64 v[52:53], v[78:79], s[0:1], v[52:53]
	v_fma_f64 v[62:63], v[40:41], s[2:3], v[28:29]
	v_add_f64 v[70:71], v[18:19], v[32:33]
	v_fma_f64 v[54:55], v[74:75], s[2:3], v[54:55]
	v_add_f64 v[74:75], v[20:21], -v[26:27]
	v_add_f64 v[78:79], v[16:17], -v[34:35]
	v_fma_f64 v[2:3], v[2:3], 2.0, -v[18:19]
	v_fma_f64 v[0:1], v[0:1], 2.0, -v[16:17]
	v_fma_f64 v[56:57], v[40:41], s[0:1], v[56:57]
	v_fma_f64 v[26:27], v[46:47], s[2:3], v[58:59]
	;; [unrolled: 1-line block ×3, first 2 shown]
	v_fma_f64 v[44:45], v[72:73], 2.0, -v[48:49]
	v_fma_f64 v[34:35], v[82:83], 2.0, -v[52:53]
	v_fma_f64 v[58:59], v[42:43], s[2:3], v[62:63]
	v_fma_f64 v[60:61], v[18:19], 2.0, -v[70:71]
	v_fma_f64 v[72:73], v[84:85], 2.0, -v[54:55]
	;; [unrolled: 1-line block ×5, first 2 shown]
	v_add_f64 v[40:41], v[2:3], -v[14:15]
	v_fma_f64 v[14:15], v[76:77], 2.0, -v[50:51]
	v_add_f64 v[8:9], v[4:5], -v[8:9]
	v_add_f64 v[46:47], v[0:1], -v[12:13]
	;; [unrolled: 1-line block ×3, first 2 shown]
	v_fma_f64 v[16:17], v[24:25], s[0:1], v[70:71]
	v_fma_f64 v[22:23], v[74:75], s[0:1], v[78:79]
	;; [unrolled: 1-line block ×3, first 2 shown]
	v_fma_f64 v[76:77], v[30:31], 2.0, -v[56:57]
	v_fma_f64 v[30:31], v[36:37], 2.0, -v[26:27]
	;; [unrolled: 1-line block ×3, first 2 shown]
	v_fma_f64 v[38:39], v[32:33], s[12:13], v[56:57]
	v_fma_f64 v[82:83], v[34:35], s[14:15], v[44:45]
	v_fma_f64 v[80:81], v[28:29], 2.0, -v[58:59]
	v_fma_f64 v[28:29], v[50:51], s[10:11], v[54:55]
	v_fma_f64 v[42:43], v[26:27], s[12:13], v[58:59]
	v_fma_f64 v[84:85], v[20:21], s[2:3], v[60:61]
	v_fma_f64 v[86:87], v[18:19], s[2:3], v[62:63]
	v_fma_f64 v[90:91], v[2:3], 2.0, -v[40:41]
	v_fma_f64 v[88:89], v[14:15], s[14:15], v[72:73]
	v_fma_f64 v[96:97], v[4:5], 2.0, -v[8:9]
	v_fma_f64 v[94:95], v[0:1], 2.0, -v[46:47]
	v_fma_f64 v[92:93], v[6:7], 2.0, -v[12:13]
	v_fma_f64 v[6:7], v[74:75], s[0:1], v[16:17]
	v_fma_f64 v[4:5], v[24:25], s[2:3], v[22:23]
	;; [unrolled: 1-line block ×3, first 2 shown]
	v_add_f64 v[10:11], v[40:41], v[8:9]
	v_add_f64 v[8:9], v[46:47], -v[12:13]
	v_fma_f64 v[98:99], v[36:37], s[16:17], v[76:77]
	v_fma_f64 v[22:23], v[26:27], s[10:11], v[38:39]
	;; [unrolled: 1-line block ×9, first 2 shown]
	v_add_f64 v[24:25], v[94:95], -v[96:97]
	v_add_f64 v[26:27], v[90:91], -v[92:93]
	v_fma_f64 v[38:39], v[70:71], 2.0, -v[6:7]
	v_fma_f64 v[34:35], v[48:49], 2.0, -v[2:3]
	;; [unrolled: 1-line block ×4, first 2 shown]
	v_fma_f64 v[30:31], v[30:31], s[12:13], v[98:99]
	v_fma_f64 v[46:47], v[44:45], 2.0, -v[14:15]
	v_fma_f64 v[28:29], v[36:37], s[14:15], v[100:101]
	v_fma_f64 v[36:37], v[78:79], 2.0, -v[4:5]
	v_fma_f64 v[32:33], v[54:55], 2.0, -v[0:1]
	v_fma_f64 v[54:55], v[56:57], 2.0, -v[22:23]
	v_fma_f64 v[50:51], v[60:61], 2.0, -v[18:19]
	v_fma_f64 v[48:49], v[62:63], 2.0, -v[16:17]
	v_fma_f64 v[52:53], v[58:59], 2.0, -v[20:21]
	v_fma_f64 v[44:45], v[72:73], 2.0, -v[12:13]
	v_fma_f64 v[56:57], v[94:95], 2.0, -v[24:25]
	v_fma_f64 v[58:59], v[90:91], 2.0, -v[26:27]
	v_fma_f64 v[62:63], v[76:77], 2.0, -v[30:31]
	v_fma_f64 v[60:61], v[80:81], 2.0, -v[28:29]
	ds_store_b128 v65, v[36:39] offset:1248
	ds_store_b128 v65, v[32:35] offset:1456
	;; [unrolled: 1-line block ×12, first 2 shown]
	ds_store_b128 v65, v[56:59]
	ds_store_b128 v65, v[60:63] offset:208
	ds_store_b128 v65, v[4:7] offset:2912
	;; [unrolled: 1-line block ×3, first 2 shown]
.LBB0_25:
	s_or_b32 exec_lo, exec_lo, s6
	v_dual_mov_b32 v1, 0 :: v_dual_lshlrev_b32 v0, 2, v64
	s_waitcnt lgkmcnt(0)
	s_barrier
	buffer_gl0_inv
	s_mov_b32 s3, 0xbfee6f0e
	v_lshlrev_b64 v[2:3], 4, v[0:1]
	s_delay_alu instid0(VALU_DEP_1) | instskip(NEXT) | instid1(VALU_DEP_1)
	v_add_co_u32 v14, s0, s4, v2
	v_add_co_ci_u32_e64 v15, s0, s5, v3, s0
	s_mov_b32 s0, 0x134454ff
	s_mov_b32 s1, 0x3fee6f0e
	s_clause 0x3
	global_load_b128 v[2:5], v[14:15], off offset:3120
	global_load_b128 v[6:9], v[14:15], off offset:3136
	;; [unrolled: 1-line block ×4, first 2 shown]
	ds_load_b128 v[18:21], v68 offset:3328
	ds_load_b128 v[22:25], v68 offset:6656
	;; [unrolled: 1-line block ×4, first 2 shown]
	s_mov_b32 s2, s0
	s_waitcnt vmcnt(3) lgkmcnt(3)
	v_mul_f64 v[34:35], v[20:21], v[4:5]
	s_waitcnt vmcnt(2) lgkmcnt(2)
	v_mul_f64 v[36:37], v[24:25], v[8:9]
	;; [unrolled: 2-line block ×4, first 2 shown]
	v_mul_f64 v[8:9], v[22:23], v[8:9]
	v_mul_f64 v[12:13], v[26:27], v[12:13]
	;; [unrolled: 1-line block ×4, first 2 shown]
	v_fma_f64 v[18:19], v[18:19], v[2:3], -v[34:35]
	v_fma_f64 v[22:23], v[22:23], v[6:7], -v[36:37]
	;; [unrolled: 1-line block ×4, first 2 shown]
	v_fma_f64 v[6:7], v[24:25], v[6:7], v[8:9]
	v_fma_f64 v[8:9], v[28:29], v[10:11], v[12:13]
	;; [unrolled: 1-line block ×4, first 2 shown]
	ds_load_b128 v[2:5], v68
	s_waitcnt lgkmcnt(0)
	s_barrier
	buffer_gl0_inv
	v_add_f64 v[28:29], v[2:3], v[18:19]
	v_add_f64 v[12:13], v[22:23], v[26:27]
	;; [unrolled: 1-line block ×3, first 2 shown]
	v_add_f64 v[38:39], v[18:19], -v[30:31]
	v_add_f64 v[16:17], v[6:7], v[8:9]
	v_add_f64 v[36:37], v[4:5], v[20:21]
	;; [unrolled: 1-line block ×3, first 2 shown]
	v_add_f64 v[32:33], v[20:21], -v[10:11]
	v_add_f64 v[34:35], v[6:7], -v[8:9]
	;; [unrolled: 1-line block ×8, first 2 shown]
	v_fma_f64 v[12:13], v[12:13], -0.5, v[2:3]
	v_fma_f64 v[2:3], v[14:15], -0.5, v[2:3]
	v_add_f64 v[14:15], v[22:23], -v[26:27]
	v_fma_f64 v[16:17], v[16:17], -0.5, v[4:5]
	v_add_f64 v[6:7], v[36:37], v[6:7]
	v_fma_f64 v[4:5], v[24:25], -0.5, v[4:5]
	v_add_f64 v[24:25], v[18:19], -v[22:23]
	v_add_f64 v[18:19], v[22:23], -v[18:19]
	v_add_f64 v[22:23], v[28:29], v[22:23]
	v_add_f64 v[20:21], v[20:21], v[48:49]
	v_fma_f64 v[28:29], v[32:33], s[0:1], v[12:13]
	v_fma_f64 v[36:37], v[34:35], s[2:3], v[2:3]
	;; [unrolled: 1-line block ×8, first 2 shown]
	s_mov_b32 s0, 0x4755a5e
	s_mov_b32 s1, 0x3fe2cf23
	;; [unrolled: 1-line block ×4, first 2 shown]
	v_add_f64 v[22:23], v[22:23], v[26:27]
	v_add_f64 v[6:7], v[6:7], v[8:9]
	;; [unrolled: 1-line block ×5, first 2 shown]
	v_fma_f64 v[8:9], v[34:35], s[0:1], v[28:29]
	v_fma_f64 v[26:27], v[32:33], s[0:1], v[36:37]
	;; [unrolled: 1-line block ×8, first 2 shown]
	s_mov_b32 s0, 0x372fe950
	s_mov_b32 s1, 0x3fd3c6ef
	v_add_f64 v[2:3], v[22:23], v[30:31]
	v_add_f64 v[4:5], v[6:7], v[10:11]
	v_fma_f64 v[6:7], v[24:25], s[0:1], v[8:9]
	v_fma_f64 v[14:15], v[18:19], s[0:1], v[26:27]
	;; [unrolled: 1-line block ×8, first 2 shown]
	ds_store_b128 v68, v[2:5]
	ds_store_b128 v68, v[6:9] offset:3328
	ds_store_b128 v68, v[14:17] offset:6656
	;; [unrolled: 1-line block ×4, first 2 shown]
	s_waitcnt lgkmcnt(0)
	s_barrier
	buffer_gl0_inv
	s_and_saveexec_b32 s0, vcc_lo
	s_cbranch_execz .LBB0_27
; %bb.26:
	v_dual_mov_b32 v65, v1 :: v_dual_add_nc_u32 v0, 0xd0, v64
	v_add_co_u32 v30, vcc_lo, s8, v66
	v_add_co_ci_u32_e32 v31, vcc_lo, s9, v67, vcc_lo
	s_delay_alu instid0(VALU_DEP_3) | instskip(NEXT) | instid1(VALU_DEP_4)
	v_lshlrev_b64 v[2:3], 4, v[64:65]
	v_lshlrev_b64 v[10:11], 4, v[0:1]
	v_lshl_add_u32 v18, v64, 4, 0
	v_add_nc_u32_e32 v0, 0x1a0, v64
	s_delay_alu instid0(VALU_DEP_4)
	v_add_co_u32 v22, vcc_lo, v30, v2
	v_add_co_ci_u32_e32 v23, vcc_lo, v31, v3, vcc_lo
	v_add_co_u32 v26, vcc_lo, v30, v10
	ds_load_b128 v[2:5], v18
	ds_load_b128 v[6:9], v18 offset:3328
	v_add_co_ci_u32_e32 v27, vcc_lo, v31, v11, vcc_lo
	ds_load_b128 v[10:13], v18 offset:6656
	ds_load_b128 v[14:17], v18 offset:9984
	;; [unrolled: 1-line block ×3, first 2 shown]
	v_lshlrev_b64 v[24:25], 4, v[0:1]
	v_add_nc_u32_e32 v0, 0x270, v64
	s_delay_alu instid0(VALU_DEP_1) | instskip(SKIP_1) | instid1(VALU_DEP_4)
	v_lshlrev_b64 v[28:29], 4, v[0:1]
	v_add_nc_u32_e32 v0, 0x340, v64
	v_add_co_u32 v24, vcc_lo, v30, v24
	v_add_co_ci_u32_e32 v25, vcc_lo, v31, v25, vcc_lo
	s_delay_alu instid0(VALU_DEP_3) | instskip(SKIP_2) | instid1(VALU_DEP_3)
	v_lshlrev_b64 v[0:1], 4, v[0:1]
	v_add_co_u32 v28, vcc_lo, v30, v28
	v_add_co_ci_u32_e32 v29, vcc_lo, v31, v29, vcc_lo
	v_add_co_u32 v0, vcc_lo, v30, v0
	s_delay_alu instid0(VALU_DEP_4)
	v_add_co_ci_u32_e32 v1, vcc_lo, v31, v1, vcc_lo
	s_waitcnt lgkmcnt(4)
	global_store_b128 v[22:23], v[2:5], off
	s_waitcnt lgkmcnt(3)
	global_store_b128 v[26:27], v[6:9], off
	;; [unrolled: 2-line block ×5, first 2 shown]
.LBB0_27:
	s_nop 0
	s_sendmsg sendmsg(MSG_DEALLOC_VGPRS)
	s_endpgm
	.section	.rodata,"a",@progbits
	.p2align	6, 0x0
	.amdhsa_kernel fft_rtc_fwd_len1040_factors_13_16_5_wgs_208_tpt_208_halfLds_dp_ip_CI_unitstride_sbrr_C2R_dirReg
		.amdhsa_group_segment_fixed_size 0
		.amdhsa_private_segment_fixed_size 0
		.amdhsa_kernarg_size 88
		.amdhsa_user_sgpr_count 15
		.amdhsa_user_sgpr_dispatch_ptr 0
		.amdhsa_user_sgpr_queue_ptr 0
		.amdhsa_user_sgpr_kernarg_segment_ptr 1
		.amdhsa_user_sgpr_dispatch_id 0
		.amdhsa_user_sgpr_private_segment_size 0
		.amdhsa_wavefront_size32 1
		.amdhsa_uses_dynamic_stack 0
		.amdhsa_enable_private_segment 0
		.amdhsa_system_sgpr_workgroup_id_x 1
		.amdhsa_system_sgpr_workgroup_id_y 0
		.amdhsa_system_sgpr_workgroup_id_z 0
		.amdhsa_system_sgpr_workgroup_info 0
		.amdhsa_system_vgpr_workitem_id 0
		.amdhsa_next_free_vgpr 231
		.amdhsa_next_free_sgpr 40
		.amdhsa_reserve_vcc 1
		.amdhsa_float_round_mode_32 0
		.amdhsa_float_round_mode_16_64 0
		.amdhsa_float_denorm_mode_32 3
		.amdhsa_float_denorm_mode_16_64 3
		.amdhsa_dx10_clamp 1
		.amdhsa_ieee_mode 1
		.amdhsa_fp16_overflow 0
		.amdhsa_workgroup_processor_mode 1
		.amdhsa_memory_ordered 1
		.amdhsa_forward_progress 0
		.amdhsa_shared_vgpr_count 0
		.amdhsa_exception_fp_ieee_invalid_op 0
		.amdhsa_exception_fp_denorm_src 0
		.amdhsa_exception_fp_ieee_div_zero 0
		.amdhsa_exception_fp_ieee_overflow 0
		.amdhsa_exception_fp_ieee_underflow 0
		.amdhsa_exception_fp_ieee_inexact 0
		.amdhsa_exception_int_div_zero 0
	.end_amdhsa_kernel
	.text
.Lfunc_end0:
	.size	fft_rtc_fwd_len1040_factors_13_16_5_wgs_208_tpt_208_halfLds_dp_ip_CI_unitstride_sbrr_C2R_dirReg, .Lfunc_end0-fft_rtc_fwd_len1040_factors_13_16_5_wgs_208_tpt_208_halfLds_dp_ip_CI_unitstride_sbrr_C2R_dirReg
                                        ; -- End function
	.section	.AMDGPU.csdata,"",@progbits
; Kernel info:
; codeLenInByte = 9732
; NumSgprs: 42
; NumVgprs: 231
; ScratchSize: 0
; MemoryBound: 0
; FloatMode: 240
; IeeeMode: 1
; LDSByteSize: 0 bytes/workgroup (compile time only)
; SGPRBlocks: 5
; VGPRBlocks: 28
; NumSGPRsForWavesPerEU: 42
; NumVGPRsForWavesPerEU: 231
; Occupancy: 6
; WaveLimiterHint : 1
; COMPUTE_PGM_RSRC2:SCRATCH_EN: 0
; COMPUTE_PGM_RSRC2:USER_SGPR: 15
; COMPUTE_PGM_RSRC2:TRAP_HANDLER: 0
; COMPUTE_PGM_RSRC2:TGID_X_EN: 1
; COMPUTE_PGM_RSRC2:TGID_Y_EN: 0
; COMPUTE_PGM_RSRC2:TGID_Z_EN: 0
; COMPUTE_PGM_RSRC2:TIDIG_COMP_CNT: 0
	.text
	.p2alignl 7, 3214868480
	.fill 96, 4, 3214868480
	.type	__hip_cuid_2a7ba1f8e481c84e,@object ; @__hip_cuid_2a7ba1f8e481c84e
	.section	.bss,"aw",@nobits
	.globl	__hip_cuid_2a7ba1f8e481c84e
__hip_cuid_2a7ba1f8e481c84e:
	.byte	0                               ; 0x0
	.size	__hip_cuid_2a7ba1f8e481c84e, 1

	.ident	"AMD clang version 19.0.0git (https://github.com/RadeonOpenCompute/llvm-project roc-6.4.0 25133 c7fe45cf4b819c5991fe208aaa96edf142730f1d)"
	.section	".note.GNU-stack","",@progbits
	.addrsig
	.addrsig_sym __hip_cuid_2a7ba1f8e481c84e
	.amdgpu_metadata
---
amdhsa.kernels:
  - .args:
      - .actual_access:  read_only
        .address_space:  global
        .offset:         0
        .size:           8
        .value_kind:     global_buffer
      - .offset:         8
        .size:           8
        .value_kind:     by_value
      - .actual_access:  read_only
        .address_space:  global
        .offset:         16
        .size:           8
        .value_kind:     global_buffer
      - .actual_access:  read_only
        .address_space:  global
        .offset:         24
        .size:           8
        .value_kind:     global_buffer
      - .offset:         32
        .size:           8
        .value_kind:     by_value
      - .actual_access:  read_only
        .address_space:  global
        .offset:         40
        .size:           8
        .value_kind:     global_buffer
      - .actual_access:  read_only
        .address_space:  global
        .offset:         48
        .size:           8
        .value_kind:     global_buffer
      - .offset:         56
        .size:           4
        .value_kind:     by_value
      - .actual_access:  read_only
        .address_space:  global
        .offset:         64
        .size:           8
        .value_kind:     global_buffer
      - .actual_access:  read_only
        .address_space:  global
        .offset:         72
        .size:           8
        .value_kind:     global_buffer
      - .address_space:  global
        .offset:         80
        .size:           8
        .value_kind:     global_buffer
    .group_segment_fixed_size: 0
    .kernarg_segment_align: 8
    .kernarg_segment_size: 88
    .language:       OpenCL C
    .language_version:
      - 2
      - 0
    .max_flat_workgroup_size: 208
    .name:           fft_rtc_fwd_len1040_factors_13_16_5_wgs_208_tpt_208_halfLds_dp_ip_CI_unitstride_sbrr_C2R_dirReg
    .private_segment_fixed_size: 0
    .sgpr_count:     42
    .sgpr_spill_count: 0
    .symbol:         fft_rtc_fwd_len1040_factors_13_16_5_wgs_208_tpt_208_halfLds_dp_ip_CI_unitstride_sbrr_C2R_dirReg.kd
    .uniform_work_group_size: 1
    .uses_dynamic_stack: false
    .vgpr_count:     231
    .vgpr_spill_count: 0
    .wavefront_size: 32
    .workgroup_processor_mode: 1
amdhsa.target:   amdgcn-amd-amdhsa--gfx1100
amdhsa.version:
  - 1
  - 2
...

	.end_amdgpu_metadata
